;; amdgpu-corpus repo=ROCm/rocFFT kind=compiled arch=gfx950 opt=O3
	.text
	.amdgcn_target "amdgcn-amd-amdhsa--gfx950"
	.amdhsa_code_object_version 6
	.protected	fft_rtc_fwd_len81_factors_3_3_3_3_wgs_108_tpt_27_halfLds_sp_op_CI_CI_unitstride_sbrr_dirReg ; -- Begin function fft_rtc_fwd_len81_factors_3_3_3_3_wgs_108_tpt_27_halfLds_sp_op_CI_CI_unitstride_sbrr_dirReg
	.globl	fft_rtc_fwd_len81_factors_3_3_3_3_wgs_108_tpt_27_halfLds_sp_op_CI_CI_unitstride_sbrr_dirReg
	.p2align	8
	.type	fft_rtc_fwd_len81_factors_3_3_3_3_wgs_108_tpt_27_halfLds_sp_op_CI_CI_unitstride_sbrr_dirReg,@function
fft_rtc_fwd_len81_factors_3_3_3_3_wgs_108_tpt_27_halfLds_sp_op_CI_CI_unitstride_sbrr_dirReg: ; @fft_rtc_fwd_len81_factors_3_3_3_3_wgs_108_tpt_27_halfLds_sp_op_CI_CI_unitstride_sbrr_dirReg
; %bb.0:
	s_load_dwordx4 s[4:7], s[0:1], 0x58
	s_load_dwordx4 s[8:11], s[0:1], 0x0
	;; [unrolled: 1-line block ×3, first 2 shown]
	v_mul_u32_u24_e32 v1, 0x97c, v0
	v_lshrrev_b32_e32 v1, 16, v1
	v_lshl_add_u32 v10, s2, 2, v1
	v_mov_b32_e32 v8, 0
	s_waitcnt lgkmcnt(0)
	v_cmp_lt_u64_e64 s[2:3], s[10:11], 2
	v_mov_b32_e32 v11, v8
	s_and_b64 vcc, exec, s[2:3]
	v_mov_b64_e32 v[6:7], 0
	s_cbranch_vccnz .LBB0_8
; %bb.1:
	s_load_dwordx2 s[2:3], s[0:1], 0x10
	s_add_u32 s16, s14, 8
	s_addc_u32 s17, s15, 0
	s_add_u32 s18, s12, 8
	s_addc_u32 s19, s13, 0
	s_waitcnt lgkmcnt(0)
	s_add_u32 s20, s2, 8
	v_mov_b64_e32 v[6:7], 0
	s_addc_u32 s21, s3, 0
	s_mov_b64 s[22:23], 1
	v_mov_b64_e32 v[2:3], v[6:7]
.LBB0_2:                                ; =>This Inner Loop Header: Depth=1
	s_load_dwordx2 s[24:25], s[20:21], 0x0
                                        ; implicit-def: $vgpr4_vgpr5
	s_waitcnt lgkmcnt(0)
	v_or_b32_e32 v9, s25, v11
	v_cmp_ne_u64_e32 vcc, 0, v[8:9]
	s_and_saveexec_b64 s[2:3], vcc
	s_xor_b64 s[26:27], exec, s[2:3]
	s_cbranch_execz .LBB0_4
; %bb.3:                                ;   in Loop: Header=BB0_2 Depth=1
	v_cvt_f32_u32_e32 v4, s24
	v_cvt_f32_u32_e32 v5, s25
	s_sub_u32 s2, 0, s24
	s_subb_u32 s3, 0, s25
	v_fmac_f32_e32 v4, 0x4f800000, v5
	v_rcp_f32_e32 v4, v4
	s_nop 0
	v_mul_f32_e32 v4, 0x5f7ffffc, v4
	v_mul_f32_e32 v5, 0x2f800000, v4
	v_trunc_f32_e32 v5, v5
	v_fmac_f32_e32 v4, 0xcf800000, v5
	v_cvt_u32_f32_e32 v9, v5
	v_cvt_u32_f32_e32 v14, v4
	v_mul_lo_u32 v4, s2, v9
	v_mul_hi_u32 v12, s2, v14
	v_mul_lo_u32 v5, s3, v14
	v_add_u32_e32 v12, v12, v4
	v_mul_lo_u32 v15, s2, v14
	v_add_u32_e32 v16, v12, v5
	v_mul_hi_u32 v4, v14, v15
	v_mul_hi_u32 v13, v14, v16
	v_mul_lo_u32 v12, v14, v16
	v_mov_b32_e32 v5, v8
	v_lshl_add_u64 v[4:5], v[4:5], 0, v[12:13]
	v_mul_hi_u32 v13, v9, v15
	v_mul_lo_u32 v15, v9, v15
	v_add_co_u32_e32 v4, vcc, v4, v15
	v_mul_hi_u32 v12, v9, v16
	s_nop 0
	v_addc_co_u32_e32 v4, vcc, v5, v13, vcc
	v_mov_b32_e32 v5, v8
	s_nop 0
	v_addc_co_u32_e32 v13, vcc, 0, v12, vcc
	v_mul_lo_u32 v12, v9, v16
	v_lshl_add_u64 v[4:5], v[4:5], 0, v[12:13]
	v_add_co_u32_e32 v14, vcc, v14, v4
	v_mul_lo_u32 v12, s2, v14
	s_nop 0
	v_addc_co_u32_e32 v9, vcc, v9, v5, vcc
	v_mul_lo_u32 v4, s2, v9
	v_mul_hi_u32 v5, s2, v14
	v_add_u32_e32 v4, v5, v4
	v_mul_lo_u32 v5, s3, v14
	v_add_u32_e32 v15, v4, v5
	v_mul_hi_u32 v17, v9, v12
	v_mul_lo_u32 v18, v9, v12
	v_mul_hi_u32 v5, v14, v15
	v_mul_lo_u32 v4, v14, v15
	v_mul_hi_u32 v12, v14, v12
	v_mov_b32_e32 v13, v8
	v_lshl_add_u64 v[4:5], v[12:13], 0, v[4:5]
	v_add_co_u32_e32 v4, vcc, v4, v18
	v_mul_hi_u32 v16, v9, v15
	s_nop 0
	v_addc_co_u32_e32 v4, vcc, v5, v17, vcc
	v_mul_lo_u32 v12, v9, v15
	s_nop 0
	v_addc_co_u32_e32 v13, vcc, 0, v16, vcc
	v_mov_b32_e32 v5, v8
	v_lshl_add_u64 v[4:5], v[4:5], 0, v[12:13]
	v_add_co_u32_e32 v14, vcc, v14, v4
	v_mul_hi_u32 v12, v10, v14
	s_nop 0
	v_addc_co_u32_e32 v9, vcc, v9, v5, vcc
	v_mad_u64_u32 v[4:5], s[2:3], v10, v9, 0
	v_mov_b32_e32 v13, v8
	v_lshl_add_u64 v[4:5], v[12:13], 0, v[4:5]
	v_mad_u64_u32 v[14:15], s[2:3], v11, v14, 0
	v_add_co_u32_e32 v4, vcc, v4, v14
	v_mad_u64_u32 v[12:13], s[2:3], v11, v9, 0
	s_nop 0
	v_addc_co_u32_e32 v4, vcc, v5, v15, vcc
	v_mov_b32_e32 v5, v8
	s_nop 0
	v_addc_co_u32_e32 v13, vcc, 0, v13, vcc
	v_lshl_add_u64 v[4:5], v[4:5], 0, v[12:13]
	v_mul_lo_u32 v9, s25, v4
	v_mul_lo_u32 v14, s24, v5
	v_mad_u64_u32 v[12:13], s[2:3], s24, v4, 0
	v_add3_u32 v9, v13, v14, v9
	v_sub_u32_e32 v13, v11, v9
	v_mov_b32_e32 v14, s25
	v_sub_co_u32_e32 v16, vcc, v10, v12
	s_nop 1
	v_subb_co_u32_e64 v12, s[2:3], v13, v14, vcc
	v_subrev_co_u32_e64 v13, s[2:3], s24, v16
	v_subb_co_u32_e32 v9, vcc, v11, v9, vcc
	s_nop 0
	v_subbrev_co_u32_e64 v12, s[2:3], 0, v12, s[2:3]
	v_cmp_le_u32_e64 s[2:3], s25, v12
	v_cmp_le_u32_e32 vcc, s25, v9
	s_nop 0
	v_cndmask_b32_e64 v14, 0, -1, s[2:3]
	v_cmp_le_u32_e64 s[2:3], s24, v13
	s_nop 1
	v_cndmask_b32_e64 v13, 0, -1, s[2:3]
	v_cmp_eq_u32_e64 s[2:3], s25, v12
	s_nop 1
	v_cndmask_b32_e64 v17, v14, v13, s[2:3]
	v_lshl_add_u64 v[12:13], v[4:5], 0, 2
	v_lshl_add_u64 v[14:15], v[4:5], 0, 1
	v_cmp_ne_u32_e64 s[2:3], 0, v17
	s_nop 1
	v_cndmask_b32_e64 v13, v15, v13, s[2:3]
	v_cndmask_b32_e64 v15, 0, -1, vcc
	v_cmp_le_u32_e32 vcc, s24, v16
	s_nop 1
	v_cndmask_b32_e64 v16, 0, -1, vcc
	v_cmp_eq_u32_e32 vcc, s25, v9
	s_nop 1
	v_cndmask_b32_e32 v9, v15, v16, vcc
	v_cmp_ne_u32_e32 vcc, 0, v9
	v_cndmask_b32_e64 v9, v14, v12, s[2:3]
	s_nop 0
	v_cndmask_b32_e32 v5, v5, v13, vcc
	v_cndmask_b32_e32 v4, v4, v9, vcc
.LBB0_4:                                ;   in Loop: Header=BB0_2 Depth=1
	s_andn2_saveexec_b64 s[2:3], s[26:27]
	s_cbranch_execz .LBB0_6
; %bb.5:                                ;   in Loop: Header=BB0_2 Depth=1
	v_cvt_f32_u32_e32 v4, s24
	s_sub_i32 s26, 0, s24
	v_rcp_iflag_f32_e32 v4, v4
	s_nop 0
	v_mul_f32_e32 v4, 0x4f7ffffe, v4
	v_cvt_u32_f32_e32 v4, v4
	v_mul_lo_u32 v5, s26, v4
	v_mul_hi_u32 v5, v4, v5
	v_add_u32_e32 v4, v4, v5
	v_mul_hi_u32 v4, v10, v4
	v_mul_lo_u32 v5, v4, s24
	v_sub_u32_e32 v5, v10, v5
	v_add_u32_e32 v9, 1, v4
	v_subrev_u32_e32 v12, s24, v5
	v_cmp_le_u32_e32 vcc, s24, v5
	s_nop 1
	v_cndmask_b32_e32 v5, v5, v12, vcc
	v_cndmask_b32_e32 v4, v4, v9, vcc
	v_add_u32_e32 v9, 1, v4
	v_cmp_le_u32_e32 vcc, s24, v5
	v_mov_b32_e32 v5, v8
	s_nop 0
	v_cndmask_b32_e32 v4, v4, v9, vcc
.LBB0_6:                                ;   in Loop: Header=BB0_2 Depth=1
	s_or_b64 exec, exec, s[2:3]
	v_mad_u64_u32 v[12:13], s[2:3], v4, s24, 0
	s_load_dwordx2 s[2:3], s[18:19], 0x0
	v_mul_lo_u32 v9, v5, s24
	v_mul_lo_u32 v14, v4, s25
	s_load_dwordx2 s[24:25], s[16:17], 0x0
	s_add_u32 s22, s22, 1
	v_add3_u32 v9, v13, v14, v9
	v_sub_co_u32_e32 v10, vcc, v10, v12
	s_addc_u32 s23, s23, 0
	s_nop 0
	v_subb_co_u32_e32 v9, vcc, v11, v9, vcc
	s_add_u32 s16, s16, 8
	s_waitcnt lgkmcnt(0)
	v_mul_lo_u32 v11, s2, v9
	v_mul_lo_u32 v12, s3, v10
	v_mad_u64_u32 v[6:7], s[2:3], s2, v10, v[6:7]
	s_addc_u32 s17, s17, 0
	v_add3_u32 v7, v12, v7, v11
	v_mul_lo_u32 v9, s24, v9
	v_mul_lo_u32 v11, s25, v10
	v_mad_u64_u32 v[2:3], s[2:3], s24, v10, v[2:3]
	s_add_u32 s18, s18, 8
	v_add3_u32 v3, v11, v3, v9
	s_addc_u32 s19, s19, 0
	v_mov_b64_e32 v[10:11], s[10:11]
	s_add_u32 s20, s20, 8
	v_cmp_ge_u64_e32 vcc, s[22:23], v[10:11]
	s_addc_u32 s21, s21, 0
	s_cbranch_vccnz .LBB0_9
; %bb.7:                                ;   in Loop: Header=BB0_2 Depth=1
	v_mov_b64_e32 v[10:11], v[4:5]
	s_branch .LBB0_2
.LBB0_8:
	v_mov_b64_e32 v[2:3], v[6:7]
	v_mov_b64_e32 v[4:5], v[10:11]
.LBB0_9:
	s_load_dwordx2 s[0:1], s[0:1], 0x28
	s_lshl_b64 s[10:11], s[10:11], 3
	s_add_u32 s2, s14, s10
	s_addc_u32 s3, s15, s11
                                        ; implicit-def: $sgpr14_sgpr15
                                        ; implicit-def: $vgpr8
	s_waitcnt lgkmcnt(0)
	v_cmp_gt_u64_e32 vcc, s[0:1], v[4:5]
	v_cmp_le_u64_e64 s[0:1], s[0:1], v[4:5]
	s_and_saveexec_b64 s[16:17], s[0:1]
	s_xor_b64 s[0:1], exec, s[16:17]
; %bb.10:
	s_mov_b32 s14, 0x97b425f
	v_mul_hi_u32 v6, v0, s14
	v_mul_u32_u24_e32 v6, 27, v6
	v_sub_u32_e32 v8, v0, v6
	s_mov_b64 s[14:15], 0
                                        ; implicit-def: $vgpr0
                                        ; implicit-def: $vgpr6_vgpr7
; %bb.11:
	s_or_saveexec_b64 s[0:1], s[0:1]
	v_mov_b64_e32 v[10:11], s[14:15]
                                        ; implicit-def: $vgpr12
                                        ; implicit-def: $vgpr14
                                        ; implicit-def: $vgpr18
                                        ; implicit-def: $vgpr16
	s_xor_b64 exec, exec, s[0:1]
	s_cbranch_execz .LBB0_13
; %bb.12:
	s_add_u32 s10, s12, s10
	s_addc_u32 s11, s13, s11
	s_load_dwordx2 s[10:11], s[10:11], 0x0
	s_mov_b32 s12, 0x97b425f
	s_waitcnt lgkmcnt(0)
	v_mul_lo_u32 v8, s11, v4
	v_mul_lo_u32 v9, s10, v5
	v_mad_u64_u32 v[10:11], s[10:11], s10, v4, 0
	v_add3_u32 v11, v11, v9, v8
	v_mul_hi_u32 v8, v0, s12
	v_mul_u32_u24_e32 v8, 27, v8
	v_sub_u32_e32 v8, v0, v8
	v_mov_b32_e32 v9, 0
	v_lshl_add_u64 v[10:11], v[10:11], 3, s[4:5]
	v_lshl_add_u64 v[6:7], v[6:7], 3, v[10:11]
	v_lshlrev_b32_e32 v10, 3, v8
	v_mov_b32_e32 v11, v9
	v_lshl_add_u64 v[6:7], v[6:7], 0, v[10:11]
	global_load_dwordx2 v[18:19], v[6:7], off
	global_load_dwordx2 v[14:15], v[6:7], off offset:216
	global_load_dwordx2 v[12:13], v[6:7], off offset:432
	v_mov_b64_e32 v[10:11], v[8:9]
	s_waitcnt vmcnt(2)
	v_mov_b32_e32 v16, v19
.LBB0_13:
	s_or_b64 exec, exec, s[0:1]
	v_and_b32_e32 v0, 3, v1
	v_mul_u32_u24_e32 v6, 0x51, v0
	s_waitcnt vmcnt(0)
	v_pk_add_f32 v[0:1], v[12:13], v[14:15]
	v_lshlrev_b32_e32 v26, 2, v6
	v_mul_f32_e32 v7, 0.5, v0
	v_mov_b32_e32 v6, v14
	v_pk_add_f32 v[20:21], v[14:15], v[12:13] neg_lo:[0,1] neg_hi:[0,1]
	v_mul_f32_e32 v25, 0.5, v1
	v_pk_add_f32 v[0:1], v[18:19], v[14:15]
	v_pk_add_f32 v[6:7], v[18:19], v[6:7] op_sel_hi:[0,1] neg_lo:[0,1] neg_hi:[0,1]
	v_mul_f32_e32 v23, 0x3f5db3d7, v21
	v_add_u32_e32 v9, 0, v26
	v_mov_b32_e32 v1, v7
	v_mov_b32_e32 v22, v12
	v_mad_u32_u24 v27, v8, 12, v9
	v_pk_add_f32 v[0:1], v[22:23], v[0:1]
	s_load_dwordx2 s[0:1], s[2:3], 0x0
	v_fmac_f32_e32 v7, 0xbf5db3d7, v21
	ds_write2_b32 v27, v0, v1 offset1:1
	ds_write_b32 v27, v7 offset:8
	v_lshlrev_b32_e32 v0, 3, v8
	v_mul_f32_e32 v17, 0x3f5db3d7, v20
	v_lshl_add_u32 v1, v8, 2, v9
	v_sub_u32_e32 v9, v27, v0
	v_mov_b32_e32 v0, v15
	v_mov_b32_e32 v24, v15
	v_pk_add_f32 v[14:15], v[16:17], v[0:1] op_sel_hi:[0,1]
	v_mov_b32_e32 v0, v13
	s_movk_i32 s2, 0xab
	v_pk_add_f32 v[18:19], v[16:17], v[24:25] op_sel_hi:[0,1] neg_lo:[0,1] neg_hi:[0,1]
	v_mov_b32_e32 v16, v13
	v_pk_add_f32 v[12:13], v[14:15], v[0:1] op_sel_hi:[1,0]
	v_mul_lo_u16_sdwa v0, v8, s2 dst_sel:DWORD dst_unused:UNUSED_PAD src0_sel:BYTE_0 src1_sel:DWORD
	v_pk_add_f32 v[14:15], v[18:19], v[16:17] neg_lo:[0,1] neg_hi:[0,1]
	v_lshrrev_b16_e32 v0, 9, v0
	s_waitcnt lgkmcnt(0)
	s_barrier
	ds_read_b32 v21, v1
	ds_read2_b32 v[6:7], v9 offset0:27 offset1:54
	s_waitcnt lgkmcnt(0)
	s_barrier
	v_fmac_f32_e32 v19, 0x3f5db3d7, v20
	ds_write2_b32 v27, v12, v15 offset1:1
	ds_write_b32 v27, v19 offset:8
	v_mul_lo_u16_e32 v12, 3, v0
	v_sub_u16_e32 v16, v8, v12
	v_mov_b32_e32 v18, 4
	v_lshlrev_b32_sdwa v12, v18, v16 dst_sel:DWORD dst_unused:UNUSED_PAD src0_sel:DWORD src1_sel:BYTE_0
	s_waitcnt lgkmcnt(0)
	s_barrier
	global_load_dwordx4 v[12:15], v12, s[8:9]
	v_mov_b32_e32 v19, 2
	v_lshlrev_b32_sdwa v20, v19, v16 dst_sel:DWORD dst_unused:UNUSED_PAD src0_sel:DWORD src1_sel:BYTE_0
	ds_read_b32 v22, v1
	ds_read2_b32 v[16:17], v9 offset0:27 offset1:54
	v_mad_u32_u24 v0, v0, 36, 0
	v_add3_u32 v0, v0, v20, v26
	s_waitcnt lgkmcnt(0)
	s_barrier
	s_movk_i32 s3, 0x6c
	s_mov_b32 s2, 0x3f5db3d7
	s_waitcnt vmcnt(0)
	v_mul_f32_e32 v20, v16, v13
	v_mul_f32_e32 v13, v6, v13
	;; [unrolled: 1-line block ×4, first 2 shown]
	v_fma_f32 v6, v6, v12, -v20
	v_fmac_f32_e32 v13, v16, v12
	v_fma_f32 v7, v7, v14, -v23
	v_fmac_f32_e32 v15, v17, v14
	v_add_f32_e32 v14, v6, v7
	v_sub_f32_e32 v16, v13, v15
	v_add_f32_e32 v17, v22, v13
	v_add_f32_e32 v13, v13, v15
	;; [unrolled: 1-line block ×3, first 2 shown]
	v_sub_f32_e32 v6, v6, v7
	v_fmac_f32_e32 v21, -0.5, v14
	v_fmac_f32_e32 v22, -0.5, v13
	v_add_f32_e32 v7, v12, v7
	v_add_f32_e32 v12, v17, v15
	v_fmamk_f32 v13, v16, 0x3f5db3d7, v21
	v_fmamk_f32 v14, v6, 0xbf5db3d7, v22
	v_fmac_f32_e32 v21, 0xbf5db3d7, v16
	v_fmac_f32_e32 v22, 0x3f5db3d7, v6
	ds_write2_b32 v0, v7, v13 offset1:3
	ds_write_b32 v0, v21 offset:24
	s_waitcnt lgkmcnt(0)
	s_barrier
	ds_read_b32 v20, v1
	ds_read2_b32 v[6:7], v9 offset0:27 offset1:54
	s_waitcnt lgkmcnt(0)
	s_barrier
	ds_write2_b32 v0, v12, v14 offset1:3
	ds_write_b32 v0, v22 offset:24
	v_mov_b32_e32 v0, 57
	v_mul_lo_u16_sdwa v0, v8, v0 dst_sel:DWORD dst_unused:UNUSED_PAD src0_sel:BYTE_0 src1_sel:DWORD
	v_lshrrev_b16_e32 v0, 9, v0
	v_mul_lo_u16_e32 v12, 9, v0
	v_sub_u16_e32 v16, v8, v12
	v_lshlrev_b32_sdwa v12, v18, v16 dst_sel:DWORD dst_unused:UNUSED_PAD src0_sel:DWORD src1_sel:BYTE_0
	s_waitcnt lgkmcnt(0)
	s_barrier
	global_load_dwordx4 v[12:15], v12, s[8:9] offset:48
	v_mad_u32_u24 v0, v0, s3, 0
	v_lshlrev_b32_sdwa v16, v19, v16 dst_sel:DWORD dst_unused:UNUSED_PAD src0_sel:DWORD src1_sel:BYTE_0
	v_add3_u32 v18, v0, v16, v26
	ds_read2_b32 v[16:17], v9 offset0:27 offset1:54
	ds_read_b32 v19, v1
	s_waitcnt lgkmcnt(0)
	s_barrier
	s_waitcnt vmcnt(0)
	v_mul_f32_e32 v0, v16, v13
	v_mul_f32_e32 v21, v17, v15
	;; [unrolled: 1-line block ×4, first 2 shown]
	v_fma_f32 v0, v6, v12, -v0
	v_fma_f32 v6, v7, v14, -v21
	v_fmac_f32_e32 v13, v16, v12
	v_fmac_f32_e32 v15, v17, v14
	v_add_f32_e32 v12, v0, v6
	v_add_f32_e32 v7, v20, v0
	v_sub_f32_e32 v14, v13, v15
	v_add_f32_e32 v16, v19, v13
	v_add_f32_e32 v13, v13, v15
	v_fmac_f32_e32 v20, -0.5, v12
	v_sub_f32_e32 v0, v0, v6
	v_add_f32_e32 v6, v7, v6
	v_fmac_f32_e32 v19, -0.5, v13
	v_fmamk_f32 v7, v14, 0x3f5db3d7, v20
	v_fmac_f32_e32 v20, 0xbf5db3d7, v14
	v_fmamk_f32 v13, v0, 0xbf5db3d7, v19
	v_fmac_f32_e32 v19, 0x3f5db3d7, v0
	ds_write2_b32 v18, v6, v7 offset1:9
	ds_write_b32 v18, v20 offset:72
	s_waitcnt lgkmcnt(0)
	s_barrier
	ds_read_b32 v0, v1
	ds_read2_b32 v[6:7], v9 offset0:27 offset1:54
	v_add_f32_e32 v12, v16, v15
	s_waitcnt lgkmcnt(0)
	s_barrier
	ds_write2_b32 v18, v12, v13 offset1:9
	ds_write_b32 v18, v19 offset:72
	s_waitcnt lgkmcnt(0)
	s_barrier
	s_and_saveexec_b64 s[4:5], vcc
	s_cbranch_execz .LBB0_15
; %bb.14:
	v_lshlrev_b32_e32 v12, 1, v8
	v_mov_b32_e32 v13, 0
	v_lshl_add_u64 v[12:13], v[12:13], 3, s[8:9]
	global_load_dwordx4 v[12:15], v[12:13], off offset:192
	ds_read2_b32 v[8:9], v9 offset0:27 offset1:54
	ds_read_b32 v1, v1
	v_mul_lo_u32 v17, s1, v4
	v_mul_lo_u32 v19, s0, v5
	v_mad_u64_u32 v[4:5], s[0:1], s0, v4, 0
	v_add3_u32 v5, v5, v19, v17
	v_lshl_add_u64 v[4:5], v[4:5], 3, s[6:7]
	v_lshl_add_u64 v[2:3], v[2:3], 3, v[4:5]
	s_waitcnt lgkmcnt(1)
	v_mov_b32_e32 v4, v9
	v_mov_b32_e32 v16, v7
	;; [unrolled: 1-line block ×3, first 2 shown]
	v_lshl_add_u64 v[2:3], v[10:11], 3, v[2:3]
	s_waitcnt vmcnt(0)
	v_pk_mul_f32 v[8:9], v[12:13], v[8:9] op_sel_hi:[1,0]
	v_pk_mul_f32 v[4:5], v[14:15], v[4:5] op_sel_hi:[1,0]
	v_pk_fma_f32 v[10:11], v[6:7], v[12:13], v[8:9] op_sel:[0,0,1] op_sel_hi:[1,1,0] neg_lo:[0,0,1] neg_hi:[0,0,1]
	v_pk_fma_f32 v[6:7], v[6:7], v[12:13], v[8:9] op_sel:[0,0,1] op_sel_hi:[0,1,0]
	v_pk_fma_f32 v[8:9], v[16:17], v[14:15], v[4:5] op_sel:[0,0,1] op_sel_hi:[1,1,0] neg_lo:[0,0,1] neg_hi:[0,0,1]
	v_pk_fma_f32 v[4:5], v[18:19], v[14:15], v[4:5] op_sel:[0,0,1] op_sel_hi:[0,1,0]
	v_mov_b32_e32 v11, v7
	v_mov_b32_e32 v9, v5
	s_waitcnt lgkmcnt(0)
	v_pk_add_f32 v[4:5], v[0:1], v[10:11]
	v_pk_add_f32 v[6:7], v[10:11], v[8:9]
	v_pk_add_f32 v[10:11], v[10:11], v[8:9] neg_lo:[0,1] neg_hi:[0,1]
	v_pk_add_f32 v[4:5], v[4:5], v[8:9]
	v_pk_fma_f32 v[0:1], -0.5, v[6:7], v[0:1] op_sel_hi:[0,1,1]
	v_pk_mul_f32 v[6:7], v[10:11], s[2:3] op_sel_hi:[1,0]
	global_store_dwordx2 v[2:3], v[4:5], off
	v_pk_add_f32 v[4:5], v[0:1], v[6:7] op_sel:[0,1] op_sel_hi:[1,0]
	v_pk_add_f32 v[0:1], v[0:1], v[6:7] op_sel:[0,1] op_sel_hi:[1,0] neg_lo:[0,1] neg_hi:[0,1]
	v_mov_b32_e32 v6, v4
	v_mov_b32_e32 v7, v1
	v_mov_b32_e32 v1, v5
	global_store_dwordx2 v[2:3], v[6:7], off offset:216
	global_store_dwordx2 v[2:3], v[0:1], off offset:432
.LBB0_15:
	s_endpgm
	.section	.rodata,"a",@progbits
	.p2align	6, 0x0
	.amdhsa_kernel fft_rtc_fwd_len81_factors_3_3_3_3_wgs_108_tpt_27_halfLds_sp_op_CI_CI_unitstride_sbrr_dirReg
		.amdhsa_group_segment_fixed_size 0
		.amdhsa_private_segment_fixed_size 0
		.amdhsa_kernarg_size 104
		.amdhsa_user_sgpr_count 2
		.amdhsa_user_sgpr_dispatch_ptr 0
		.amdhsa_user_sgpr_queue_ptr 0
		.amdhsa_user_sgpr_kernarg_segment_ptr 1
		.amdhsa_user_sgpr_dispatch_id 0
		.amdhsa_user_sgpr_kernarg_preload_length 0
		.amdhsa_user_sgpr_kernarg_preload_offset 0
		.amdhsa_user_sgpr_private_segment_size 0
		.amdhsa_uses_dynamic_stack 0
		.amdhsa_enable_private_segment 0
		.amdhsa_system_sgpr_workgroup_id_x 1
		.amdhsa_system_sgpr_workgroup_id_y 0
		.amdhsa_system_sgpr_workgroup_id_z 0
		.amdhsa_system_sgpr_workgroup_info 0
		.amdhsa_system_vgpr_workitem_id 0
		.amdhsa_next_free_vgpr 28
		.amdhsa_next_free_sgpr 28
		.amdhsa_accum_offset 28
		.amdhsa_reserve_vcc 1
		.amdhsa_float_round_mode_32 0
		.amdhsa_float_round_mode_16_64 0
		.amdhsa_float_denorm_mode_32 3
		.amdhsa_float_denorm_mode_16_64 3
		.amdhsa_dx10_clamp 1
		.amdhsa_ieee_mode 1
		.amdhsa_fp16_overflow 0
		.amdhsa_tg_split 0
		.amdhsa_exception_fp_ieee_invalid_op 0
		.amdhsa_exception_fp_denorm_src 0
		.amdhsa_exception_fp_ieee_div_zero 0
		.amdhsa_exception_fp_ieee_overflow 0
		.amdhsa_exception_fp_ieee_underflow 0
		.amdhsa_exception_fp_ieee_inexact 0
		.amdhsa_exception_int_div_zero 0
	.end_amdhsa_kernel
	.text
.Lfunc_end0:
	.size	fft_rtc_fwd_len81_factors_3_3_3_3_wgs_108_tpt_27_halfLds_sp_op_CI_CI_unitstride_sbrr_dirReg, .Lfunc_end0-fft_rtc_fwd_len81_factors_3_3_3_3_wgs_108_tpt_27_halfLds_sp_op_CI_CI_unitstride_sbrr_dirReg
                                        ; -- End function
	.section	.AMDGPU.csdata,"",@progbits
; Kernel info:
; codeLenInByte = 2524
; NumSgprs: 34
; NumVgprs: 28
; NumAgprs: 0
; TotalNumVgprs: 28
; ScratchSize: 0
; MemoryBound: 0
; FloatMode: 240
; IeeeMode: 1
; LDSByteSize: 0 bytes/workgroup (compile time only)
; SGPRBlocks: 4
; VGPRBlocks: 3
; NumSGPRsForWavesPerEU: 34
; NumVGPRsForWavesPerEU: 28
; AccumOffset: 28
; Occupancy: 8
; WaveLimiterHint : 1
; COMPUTE_PGM_RSRC2:SCRATCH_EN: 0
; COMPUTE_PGM_RSRC2:USER_SGPR: 2
; COMPUTE_PGM_RSRC2:TRAP_HANDLER: 0
; COMPUTE_PGM_RSRC2:TGID_X_EN: 1
; COMPUTE_PGM_RSRC2:TGID_Y_EN: 0
; COMPUTE_PGM_RSRC2:TGID_Z_EN: 0
; COMPUTE_PGM_RSRC2:TIDIG_COMP_CNT: 0
; COMPUTE_PGM_RSRC3_GFX90A:ACCUM_OFFSET: 6
; COMPUTE_PGM_RSRC3_GFX90A:TG_SPLIT: 0
	.text
	.p2alignl 6, 3212836864
	.fill 256, 4, 3212836864
	.type	__hip_cuid_7ef178e49a2f7767,@object ; @__hip_cuid_7ef178e49a2f7767
	.section	.bss,"aw",@nobits
	.globl	__hip_cuid_7ef178e49a2f7767
__hip_cuid_7ef178e49a2f7767:
	.byte	0                               ; 0x0
	.size	__hip_cuid_7ef178e49a2f7767, 1

	.ident	"AMD clang version 19.0.0git (https://github.com/RadeonOpenCompute/llvm-project roc-6.4.0 25133 c7fe45cf4b819c5991fe208aaa96edf142730f1d)"
	.section	".note.GNU-stack","",@progbits
	.addrsig
	.addrsig_sym __hip_cuid_7ef178e49a2f7767
	.amdgpu_metadata
---
amdhsa.kernels:
  - .agpr_count:     0
    .args:
      - .actual_access:  read_only
        .address_space:  global
        .offset:         0
        .size:           8
        .value_kind:     global_buffer
      - .offset:         8
        .size:           8
        .value_kind:     by_value
      - .actual_access:  read_only
        .address_space:  global
        .offset:         16
        .size:           8
        .value_kind:     global_buffer
      - .actual_access:  read_only
        .address_space:  global
        .offset:         24
        .size:           8
        .value_kind:     global_buffer
      - .actual_access:  read_only
        .address_space:  global
        .offset:         32
        .size:           8
        .value_kind:     global_buffer
      - .offset:         40
        .size:           8
        .value_kind:     by_value
      - .actual_access:  read_only
        .address_space:  global
        .offset:         48
        .size:           8
        .value_kind:     global_buffer
      - .actual_access:  read_only
        .address_space:  global
        .offset:         56
        .size:           8
        .value_kind:     global_buffer
      - .offset:         64
        .size:           4
        .value_kind:     by_value
      - .actual_access:  read_only
        .address_space:  global
        .offset:         72
        .size:           8
        .value_kind:     global_buffer
      - .actual_access:  read_only
        .address_space:  global
        .offset:         80
        .size:           8
        .value_kind:     global_buffer
      - .actual_access:  read_only
        .address_space:  global
        .offset:         88
        .size:           8
        .value_kind:     global_buffer
      - .actual_access:  write_only
        .address_space:  global
        .offset:         96
        .size:           8
        .value_kind:     global_buffer
    .group_segment_fixed_size: 0
    .kernarg_segment_align: 8
    .kernarg_segment_size: 104
    .language:       OpenCL C
    .language_version:
      - 2
      - 0
    .max_flat_workgroup_size: 108
    .name:           fft_rtc_fwd_len81_factors_3_3_3_3_wgs_108_tpt_27_halfLds_sp_op_CI_CI_unitstride_sbrr_dirReg
    .private_segment_fixed_size: 0
    .sgpr_count:     34
    .sgpr_spill_count: 0
    .symbol:         fft_rtc_fwd_len81_factors_3_3_3_3_wgs_108_tpt_27_halfLds_sp_op_CI_CI_unitstride_sbrr_dirReg.kd
    .uniform_work_group_size: 1
    .uses_dynamic_stack: false
    .vgpr_count:     28
    .vgpr_spill_count: 0
    .wavefront_size: 64
amdhsa.target:   amdgcn-amd-amdhsa--gfx950
amdhsa.version:
  - 1
  - 2
...

	.end_amdgpu_metadata
